;; amdgpu-corpus repo=ROCm/rocFFT kind=compiled arch=gfx906 opt=O3
	.text
	.amdgcn_target "amdgcn-amd-amdhsa--gfx906"
	.amdhsa_code_object_version 6
	.protected	bluestein_single_back_len250_dim1_dp_op_CI_CI ; -- Begin function bluestein_single_back_len250_dim1_dp_op_CI_CI
	.globl	bluestein_single_back_len250_dim1_dp_op_CI_CI
	.p2align	8
	.type	bluestein_single_back_len250_dim1_dp_op_CI_CI,@function
bluestein_single_back_len250_dim1_dp_op_CI_CI: ; @bluestein_single_back_len250_dim1_dp_op_CI_CI
; %bb.0:
	v_mul_u32_u24_e32 v1, 0xa3e, v0
	s_load_dwordx4 s[12:15], s[4:5], 0x28
	v_lshrrev_b32_e32 v1, 16, v1
	v_mad_u64_u32 v[104:105], s[0:1], s6, 5, v[1:2]
	v_mov_b32_e32 v105, 0
	s_waitcnt lgkmcnt(0)
	v_cmp_gt_u64_e32 vcc, s[12:13], v[104:105]
	s_and_saveexec_b64 s[0:1], vcc
	s_cbranch_execz .LBB0_2
; %bb.1:
	s_load_dwordx4 s[0:3], s[4:5], 0x18
	s_load_dwordx4 s[8:11], s[4:5], 0x0
	v_mul_lo_u16_e32 v1, 25, v1
	v_sub_u16_e32 v105, v0, v1
	v_mov_b32_e32 v7, s15
	s_waitcnt lgkmcnt(0)
	s_load_dwordx4 s[16:19], s[0:1], 0x0
	s_add_u32 s20, s8, 0xfa0
	s_addc_u32 s21, s9, 0
	v_lshlrev_b32_e32 v107, 4, v105
	s_mov_b32 s12, 0x134454ff
	s_waitcnt lgkmcnt(0)
	v_mad_u64_u32 v[0:1], s[0:1], s18, v104, 0
	v_mad_u64_u32 v[2:3], s[0:1], s16, v105, 0
	s_mov_b32 s13, 0x3fee6f0e
	s_mov_b32 s18, s12
	v_mad_u64_u32 v[4:5], s[0:1], s19, v104, v[1:2]
	s_mov_b32 s19, 0xbfee6f0e
	s_mov_b32 s6, 0x372fe950
	v_mad_u64_u32 v[5:6], s[0:1], s17, v105, v[3:4]
	v_mov_b32_e32 v1, v4
	v_lshlrev_b64 v[0:1], 4, v[0:1]
	v_mov_b32_e32 v3, v5
	v_add_co_u32_e32 v4, vcc, s14, v0
	v_addc_co_u32_e32 v5, vcc, v7, v1, vcc
	v_lshlrev_b64 v[0:1], 4, v[2:3]
	s_mul_i32 s0, s17, 0x190
	v_add_co_u32_e32 v0, vcc, v4, v0
	s_mul_hi_u32 s1, s16, 0x190
	v_addc_co_u32_e32 v1, vcc, v5, v1, vcc
	s_add_i32 s0, s1, s0
	s_mul_i32 s1, s16, 0x190
	global_load_dwordx4 v[40:43], v[0:1], off
	v_mov_b32_e32 v2, s0
	v_add_co_u32_e32 v0, vcc, s1, v0
	v_addc_co_u32_e32 v1, vcc, v1, v2, vcc
	global_load_dwordx4 v[36:39], v107, s[8:9]
	global_load_dwordx4 v[20:23], v107, s[8:9] offset:400
	v_mov_b32_e32 v3, s0
	v_add_co_u32_e32 v2, vcc, s1, v0
	v_addc_co_u32_e32 v3, vcc, v1, v3, vcc
	global_load_dwordx4 v[44:47], v[0:1], off
	global_load_dwordx4 v[48:51], v[2:3], off
	v_mov_b32_e32 v1, s0
	v_add_co_u32_e32 v0, vcc, s1, v2
	v_addc_co_u32_e32 v1, vcc, v3, v1, vcc
	v_mov_b32_e32 v3, s0
	v_add_co_u32_e32 v2, vcc, s1, v0
	v_addc_co_u32_e32 v3, vcc, v1, v3, vcc
	global_load_dwordx4 v[28:31], v107, s[8:9] offset:800
	global_load_dwordx4 v[4:7], v107, s[8:9] offset:1200
	global_load_dwordx4 v[52:55], v[0:1], off
	global_load_dwordx4 v[56:59], v[2:3], off
	v_mov_b32_e32 v0, s0
	v_add_co_u32_e32 v8, vcc, s1, v2
	v_addc_co_u32_e32 v9, vcc, v3, v0, vcc
	global_load_dwordx4 v[60:63], v[8:9], off
	global_load_dwordx4 v[32:35], v107, s[8:9] offset:1600
	global_load_dwordx4 v[0:3], v107, s[8:9] offset:2000
	v_mov_b32_e32 v10, s0
	v_add_co_u32_e32 v8, vcc, s1, v8
	v_addc_co_u32_e32 v9, vcc, v9, v10, vcc
	v_add_co_u32_e32 v12, vcc, s1, v8
	v_addc_co_u32_e32 v13, vcc, v9, v10, vcc
	global_load_dwordx4 v[64:67], v[8:9], off
	global_load_dwordx4 v[68:71], v[12:13], off
	global_load_dwordx4 v[24:27], v107, s[8:9] offset:2400
	s_nop 0
	global_load_dwordx4 v[8:11], v107, s[8:9] offset:2800
	v_mov_b32_e32 v14, s0
	v_add_co_u32_e32 v12, vcc, s1, v12
	v_addc_co_u32_e32 v13, vcc, v13, v14, vcc
	global_load_dwordx4 v[73:76], v[12:13], off
	v_add_co_u32_e32 v81, vcc, s1, v12
	v_addc_co_u32_e32 v82, vcc, v13, v14, vcc
	global_load_dwordx4 v[12:15], v107, s[8:9] offset:3200
	global_load_dwordx4 v[16:19], v107, s[8:9] offset:3600
	global_load_dwordx4 v[77:80], v[81:82], off
	s_mov_b32 s0, 0xcccccccd
	v_mul_hi_u32 v72, v104, s0
	s_load_dwordx4 s[0:3], s[2:3], 0x0
	s_mov_b32 s14, 0x4755a5e
	s_mov_b32 s15, 0x3fe2cf23
	v_lshrrev_b32_e32 v72, 2, v72
	v_lshl_add_u32 v72, v72, 2, v72
	v_sub_u32_e32 v72, v104, v72
	v_mul_u32_u24_e32 v72, 0xfa, v72
	v_lshlrev_b32_e32 v72, 4, v72
	v_add_u32_e32 v106, v107, v72
	s_mov_b32 s17, 0xbfe2cf23
	s_mov_b32 s16, s14
	;; [unrolled: 1-line block ×9, first 2 shown]
	s_movk_i32 s28, 0xcd
	s_load_dwordx2 s[4:5], s[4:5], 0x38
	s_waitcnt vmcnt(18)
	v_mul_f64 v[81:82], v[42:43], v[38:39]
	v_mul_f64 v[83:84], v[40:41], v[38:39]
	s_waitcnt vmcnt(16)
	v_mul_f64 v[85:86], v[46:47], v[22:23]
	v_mul_f64 v[87:88], v[44:45], v[22:23]
	v_fma_f64 v[40:41], v[40:41], v[36:37], v[81:82]
	v_fma_f64 v[42:43], v[42:43], v[36:37], -v[83:84]
	v_fma_f64 v[44:45], v[44:45], v[20:21], v[85:86]
	v_fma_f64 v[46:47], v[46:47], v[20:21], -v[87:88]
	ds_write_b128 v106, v[40:43]
	ds_write_b128 v106, v[44:47] offset:400
	s_waitcnt vmcnt(14)
	v_mul_f64 v[81:82], v[50:51], v[30:31]
	v_mul_f64 v[83:84], v[48:49], v[30:31]
	s_waitcnt vmcnt(9)
	v_mul_f64 v[89:90], v[58:59], v[34:35]
	v_mul_f64 v[91:92], v[56:57], v[34:35]
	;; [unrolled: 1-line block ×4, first 2 shown]
	s_waitcnt vmcnt(8)
	v_mul_f64 v[93:94], v[62:63], v[2:3]
	v_mul_f64 v[95:96], v[60:61], v[2:3]
	v_fma_f64 v[40:41], v[48:49], v[28:29], v[81:82]
	v_fma_f64 v[42:43], v[50:51], v[28:29], -v[83:84]
	v_fma_f64 v[48:49], v[56:57], v[32:33], v[89:90]
	v_fma_f64 v[50:51], v[58:59], v[32:33], -v[91:92]
	s_waitcnt vmcnt(5)
	v_mul_f64 v[56:57], v[66:67], v[26:27]
	v_mul_f64 v[58:59], v[64:65], v[26:27]
	v_fma_f64 v[44:45], v[52:53], v[4:5], v[85:86]
	v_fma_f64 v[46:47], v[54:55], v[4:5], -v[87:88]
	v_fma_f64 v[52:53], v[60:61], v[0:1], v[93:94]
	v_fma_f64 v[54:55], v[62:63], v[0:1], -v[95:96]
	s_waitcnt vmcnt(4)
	v_mul_f64 v[60:61], v[70:71], v[10:11]
	v_mul_f64 v[62:63], v[68:69], v[10:11]
	v_fma_f64 v[56:57], v[64:65], v[24:25], v[56:57]
	v_fma_f64 v[58:59], v[66:67], v[24:25], -v[58:59]
	s_waitcnt vmcnt(2)
	v_mul_f64 v[81:82], v[75:76], v[14:15]
	v_mul_f64 v[83:84], v[73:74], v[14:15]
	s_waitcnt vmcnt(0)
	v_mul_f64 v[85:86], v[79:80], v[18:19]
	v_mul_f64 v[87:88], v[77:78], v[18:19]
	v_fma_f64 v[60:61], v[68:69], v[8:9], v[60:61]
	v_fma_f64 v[62:63], v[70:71], v[8:9], -v[62:63]
	v_fma_f64 v[64:65], v[73:74], v[12:13], v[81:82]
	v_fma_f64 v[66:67], v[75:76], v[12:13], -v[83:84]
	v_fma_f64 v[68:69], v[77:78], v[16:17], v[85:86]
	v_fma_f64 v[70:71], v[79:80], v[16:17], -v[87:88]
	ds_write_b128 v106, v[40:43] offset:800
	ds_write_b128 v106, v[44:47] offset:1200
	;; [unrolled: 1-line block ×8, first 2 shown]
	s_waitcnt lgkmcnt(0)
	s_barrier
	ds_read_b128 v[40:43], v106 offset:800
	ds_read_b128 v[44:47], v106
	ds_read_b128 v[48:51], v106 offset:1600
	ds_read_b128 v[52:55], v106 offset:2400
	;; [unrolled: 1-line block ×4, first 2 shown]
	s_waitcnt lgkmcnt(4)
	v_add_f64 v[77:78], v[44:45], v[40:41]
	ds_read_b128 v[64:67], v106 offset:2000
	ds_read_b128 v[68:71], v106 offset:2800
	s_waitcnt lgkmcnt(4)
	v_add_f64 v[79:80], v[48:49], v[52:53]
	ds_read_b128 v[73:76], v106 offset:3200
	v_add_f64 v[91:92], v[40:41], -v[48:49]
	v_add_f64 v[89:90], v[50:51], -v[54:55]
	;; [unrolled: 1-line block ×3, first 2 shown]
	v_add_f64 v[81:82], v[77:78], v[48:49]
	v_add_f64 v[48:49], v[48:49], -v[52:53]
	v_fma_f64 v[83:84], v[79:80], -0.5, v[44:45]
	ds_read_b128 v[77:80], v106 offset:3600
	s_waitcnt lgkmcnt(1)
	v_add_f64 v[85:86], v[42:43], -v[75:76]
	v_add_f64 v[93:94], v[73:74], -v[52:53]
	v_add_f64 v[95:96], v[40:41], v[73:74]
	v_add_f64 v[101:102], v[52:53], -v[73:74]
	v_add_f64 v[81:82], v[81:82], v[52:53]
	;; [unrolled: 2-line block ×3, first 2 shown]
	s_waitcnt lgkmcnt(0)
	v_add_f64 v[108:109], v[77:78], -v[68:69]
	v_fma_f64 v[87:88], v[85:86], s[12:13], v[83:84]
	v_add_f64 v[91:92], v[91:92], v[93:94]
	v_fma_f64 v[44:45], v[95:96], -0.5, v[44:45]
	v_fma_f64 v[83:84], v[85:86], s[18:19], v[83:84]
	v_add_f64 v[93:94], v[46:47], v[42:43]
	v_add_f64 v[95:96], v[50:51], v[54:55]
	v_add_f64 v[81:82], v[81:82], v[73:74]
	v_fma_f64 v[52:53], v[52:53], -0.5, v[56:57]
	v_fma_f64 v[87:88], v[89:90], s[14:15], v[87:88]
	v_fma_f64 v[97:98], v[89:90], s[18:19], v[44:45]
	;; [unrolled: 1-line block ×4, first 2 shown]
	v_add_f64 v[89:90], v[93:94], v[50:51]
	v_fma_f64 v[93:94], v[95:96], -0.5, v[46:47]
	v_add_f64 v[95:96], v[99:100], v[101:102]
	v_fma_f64 v[87:88], v[91:92], s[6:7], v[87:88]
	v_add_f64 v[99:100], v[75:76], -v[54:55]
	v_fma_f64 v[73:74], v[85:86], s[14:15], v[97:98]
	v_fma_f64 v[83:84], v[91:92], s[6:7], v[83:84]
	v_fma_f64 v[44:45], v[85:86], s[16:17], v[44:45]
	v_add_f64 v[85:86], v[89:90], v[54:55]
	v_add_f64 v[89:90], v[42:43], v[75:76]
	v_fma_f64 v[91:92], v[40:41], s[18:19], v[93:94]
	v_add_f64 v[97:98], v[42:43], -v[50:51]
	v_fma_f64 v[93:94], v[40:41], s[12:13], v[93:94]
	v_fma_f64 v[73:74], v[95:96], s[6:7], v[73:74]
	v_add_f64 v[42:43], v[50:51], -v[42:43]
	v_fma_f64 v[95:96], v[95:96], s[6:7], v[44:45]
	v_add_f64 v[50:51], v[54:55], -v[75:76]
	v_fma_f64 v[44:45], v[89:90], -0.5, v[46:47]
	v_fma_f64 v[46:47], v[48:49], s[16:17], v[91:92]
	v_add_f64 v[89:90], v[56:57], v[60:61]
	v_add_f64 v[91:92], v[62:63], -v[79:80]
	v_add_f64 v[97:98], v[97:98], v[99:100]
	v_add_f64 v[85:86], v[85:86], v[75:76]
	v_add_f64 v[101:102], v[60:61], -v[64:65]
	v_add_f64 v[42:43], v[42:43], v[50:51]
	v_fma_f64 v[99:100], v[48:49], s[12:13], v[44:45]
	v_fma_f64 v[44:45], v[48:49], s[18:19], v[44:45]
	v_add_f64 v[54:55], v[89:90], v[64:65]
	v_fma_f64 v[75:76], v[91:92], s[12:13], v[52:53]
	v_add_f64 v[89:90], v[66:67], -v[70:71]
	v_fma_f64 v[48:49], v[48:49], s[14:15], v[93:94]
	s_barrier
	v_fma_f64 v[93:94], v[40:41], s[16:17], v[99:100]
	v_add_f64 v[99:100], v[60:61], v[77:78]
	v_fma_f64 v[40:41], v[40:41], s[14:15], v[44:45]
	v_add_f64 v[44:45], v[54:55], v[68:69]
	v_fma_f64 v[50:51], v[89:90], s[14:15], v[75:76]
	v_fma_f64 v[75:76], v[97:98], s[6:7], v[46:47]
	;; [unrolled: 1-line block ×3, first 2 shown]
	v_add_f64 v[48:49], v[62:63], v[79:80]
	v_add_f64 v[54:55], v[101:102], v[108:109]
	v_fma_f64 v[46:47], v[99:100], -0.5, v[56:57]
	v_fma_f64 v[99:100], v[42:43], s[6:7], v[40:41]
	v_add_f64 v[40:41], v[66:67], v[70:71]
	v_add_f64 v[101:102], v[44:45], v[77:78]
	v_fma_f64 v[44:45], v[91:92], s[18:19], v[52:53]
	v_add_f64 v[52:53], v[64:65], -v[60:61]
	v_add_f64 v[56:57], v[68:69], -v[77:78]
	v_add_f64 v[108:109], v[58:59], v[62:63]
	v_add_f64 v[60:61], v[60:61], -v[77:78]
	v_add_f64 v[64:65], v[64:65], -v[68:69]
	v_fma_f64 v[40:41], v[40:41], -0.5, v[58:59]
	v_fma_f64 v[48:49], v[48:49], -0.5, v[58:59]
	v_fma_f64 v[93:94], v[42:43], s[6:7], v[93:94]
	v_fma_f64 v[42:43], v[54:55], s[6:7], v[50:51]
	;; [unrolled: 1-line block ×4, first 2 shown]
	v_add_f64 v[52:53], v[52:53], v[56:57]
	v_fma_f64 v[46:47], v[89:90], s[12:13], v[46:47]
	v_add_f64 v[56:57], v[108:109], v[66:67]
	v_fma_f64 v[58:59], v[60:61], s[18:19], v[40:41]
	v_add_f64 v[68:69], v[62:63], -v[66:67]
	v_fma_f64 v[77:78], v[64:65], s[12:13], v[48:49]
	v_add_f64 v[62:63], v[66:67], -v[62:63]
	v_add_f64 v[66:67], v[70:71], -v[79:80]
	v_add_f64 v[89:90], v[79:80], -v[70:71]
	v_fma_f64 v[48:49], v[64:65], s[18:19], v[48:49]
	v_fma_f64 v[40:41], v[60:61], s[12:13], v[40:41]
	;; [unrolled: 1-line block ×4, first 2 shown]
	v_add_f64 v[56:57], v[56:57], v[70:71]
	v_fma_f64 v[58:59], v[64:65], s[16:17], v[58:59]
	v_fma_f64 v[70:71], v[60:61], s[16:17], v[77:78]
	v_add_f64 v[62:63], v[62:63], v[66:67]
	v_add_f64 v[66:67], v[68:69], v[89:90]
	v_fma_f64 v[48:49], v[60:61], s[14:15], v[48:49]
	v_fma_f64 v[40:41], v[64:65], s[14:15], v[40:41]
	;; [unrolled: 1-line block ×5, first 2 shown]
	v_add_f64 v[79:80], v[56:57], v[79:80]
	v_fma_f64 v[50:51], v[62:63], s[6:7], v[70:71]
	v_fma_f64 v[52:53], v[66:67], s[6:7], v[58:59]
	v_mul_f64 v[58:59], v[42:43], s[26:27]
	v_fma_f64 v[48:49], v[62:63], s[6:7], v[48:49]
	v_fma_f64 v[56:57], v[66:67], s[6:7], v[40:41]
	v_mul_f64 v[42:43], v[42:43], s[16:17]
	v_mul_f64 v[62:63], v[46:47], s[22:23]
	;; [unrolled: 1-line block ×4, first 2 shown]
	v_add_f64 v[40:41], v[81:82], v[101:102]
	v_fma_f64 v[66:67], v[52:53], s[14:15], v[58:59]
	v_mul_f64 v[58:59], v[44:45], s[18:19]
	v_mul_f64 v[68:69], v[48:49], s[22:23]
	;; [unrolled: 1-line block ×3, first 2 shown]
	v_fma_f64 v[91:92], v[52:53], s[26:27], v[42:43]
	v_fma_f64 v[62:63], v[48:49], s[12:13], v[62:63]
	;; [unrolled: 1-line block ×4, first 2 shown]
	v_add_f64 v[42:43], v[85:86], v[79:80]
	v_fma_f64 v[108:109], v[50:51], s[6:7], v[58:59]
	v_fma_f64 v[110:111], v[46:47], s[18:19], v[68:69]
	;; [unrolled: 1-line block ×3, first 2 shown]
	v_add_f64 v[44:45], v[87:88], v[66:67]
	v_add_f64 v[46:47], v[75:76], v[91:92]
	;; [unrolled: 1-line block ×8, first 2 shown]
	v_add_f64 v[60:61], v[81:82], -v[101:102]
	v_add_f64 v[68:69], v[73:74], -v[77:78]
	;; [unrolled: 1-line block ×6, first 2 shown]
	v_mul_lo_u16_e32 v81, 10, v105
	v_add_f64 v[70:71], v[93:94], -v[108:109]
	v_lshl_add_u32 v108, v81, 4, v72
	v_add_f64 v[77:78], v[83:84], -v[89:90]
	v_add_f64 v[75:76], v[99:100], -v[110:111]
	;; [unrolled: 1-line block ×3, first 2 shown]
	ds_write_b128 v108, v[40:43]
	ds_write_b128 v108, v[44:47] offset:16
	ds_write_b128 v108, v[48:51] offset:32
	;; [unrolled: 1-line block ×9, first 2 shown]
	v_mul_lo_u16_sdwa v40, v105, s28 dst_sel:DWORD dst_unused:UNUSED_PAD src0_sel:BYTE_0 src1_sel:DWORD
	v_lshrrev_b16_e32 v73, 11, v40
	v_mul_lo_u16_e32 v40, 10, v73
	v_sub_u16_e32 v74, v105, v40
	v_lshlrev_b16_e32 v40, 2, v74
	v_and_b32_e32 v40, 0xfc, v40
	v_lshlrev_b32_e32 v40, 4, v40
	s_waitcnt lgkmcnt(0)
	s_barrier
	global_load_dwordx4 v[56:59], v40, s[10:11]
	global_load_dwordx4 v[52:55], v40, s[10:11] offset:16
	global_load_dwordx4 v[48:51], v40, s[10:11] offset:32
	;; [unrolled: 1-line block ×3, first 2 shown]
	v_add_co_u32_e32 v88, vcc, 25, v105
	v_mul_lo_u16_sdwa v40, v88, s28 dst_sel:DWORD dst_unused:UNUSED_PAD src0_sel:BYTE_0 src1_sel:DWORD
	v_lshrrev_b16_e32 v87, 11, v40
	v_mul_lo_u16_e32 v40, 10, v87
	v_sub_u16_e32 v103, v88, v40
	v_mov_b32_e32 v40, 6
	v_lshlrev_b32_sdwa v75, v40, v103 dst_sel:DWORD dst_unused:UNUSED_PAD src0_sel:DWORD src1_sel:BYTE_0
	global_load_dwordx4 v[68:71], v75, s[10:11]
	global_load_dwordx4 v[64:67], v75, s[10:11] offset:16
	global_load_dwordx4 v[60:63], v75, s[10:11] offset:32
	;; [unrolled: 1-line block ×3, first 2 shown]
	ds_read_b128 v[75:78], v106 offset:800
	ds_read_b128 v[79:82], v106 offset:1200
	ds_read_b128 v[83:86], v106 offset:1600
	ds_read_b128 v[89:92], v106 offset:2000
	ds_read_b128 v[93:96], v106 offset:2400
	ds_read_b128 v[109:112], v106 offset:3200
	v_mad_legacy_u16 v73, v73, 50, v74
	v_and_b32_e32 v73, 0xff, v73
	s_waitcnt vmcnt(7) lgkmcnt(5)
	v_mul_f64 v[97:98], v[77:78], v[58:59]
	s_waitcnt vmcnt(6) lgkmcnt(3)
	v_mul_f64 v[113:114], v[85:86], v[54:55]
	v_mul_f64 v[115:116], v[83:84], v[54:55]
	s_waitcnt vmcnt(5) lgkmcnt(1)
	v_mul_f64 v[119:120], v[95:96], v[50:51]
	v_mul_f64 v[121:122], v[93:94], v[50:51]
	;; [unrolled: 1-line block ×3, first 2 shown]
	v_fma_f64 v[117:118], v[75:76], v[56:57], -v[97:98]
	ds_read_b128 v[97:100], v106 offset:2800
	v_fma_f64 v[113:114], v[83:84], v[52:53], -v[113:114]
	v_fma_f64 v[115:116], v[85:86], v[52:53], v[115:116]
	s_waitcnt vmcnt(4) lgkmcnt(1)
	v_mul_f64 v[83:84], v[111:112], v[46:47]
	v_mul_f64 v[85:86], v[109:110], v[46:47]
	v_fma_f64 v[93:94], v[93:94], v[48:49], -v[119:120]
	v_fma_f64 v[95:96], v[95:96], v[48:49], v[121:122]
	s_waitcnt vmcnt(2)
	v_mul_f64 v[123:124], v[91:92], v[66:67]
	s_waitcnt vmcnt(1) lgkmcnt(0)
	v_mul_f64 v[127:128], v[99:100], v[62:63]
	v_mul_f64 v[125:126], v[89:90], v[66:67]
	;; [unrolled: 1-line block ×5, first 2 shown]
	v_fma_f64 v[101:102], v[77:78], v[56:57], v[101:102]
	ds_read_b128 v[75:78], v106 offset:3600
	v_fma_f64 v[109:110], v[109:110], v[44:45], -v[83:84]
	v_fma_f64 v[111:112], v[111:112], v[44:45], v[85:86]
	v_fma_f64 v[123:124], v[89:90], v[64:65], -v[123:124]
	v_fma_f64 v[127:128], v[97:98], v[60:61], -v[127:128]
	v_add_f64 v[89:90], v[113:114], v[93:94]
	v_add_f64 v[97:98], v[115:116], v[95:96]
	v_fma_f64 v[125:126], v[91:92], v[64:65], v[125:126]
	v_fma_f64 v[129:130], v[99:100], v[60:61], v[129:130]
	s_waitcnt vmcnt(0) lgkmcnt(0)
	v_mul_f64 v[91:92], v[77:78], v[42:43]
	v_mul_f64 v[99:100], v[75:76], v[42:43]
	v_fma_f64 v[119:120], v[79:80], v[68:69], -v[119:120]
	v_fma_f64 v[121:122], v[81:82], v[68:69], v[121:122]
	ds_read_b128 v[79:82], v106
	ds_read_b128 v[83:86], v106 offset:400
	v_add_f64 v[131:132], v[117:118], -v[113:114]
	v_add_f64 v[133:134], v[109:110], -v[93:94]
	;; [unrolled: 1-line block ×3, first 2 shown]
	s_waitcnt lgkmcnt(1)
	v_fma_f64 v[89:90], v[89:90], -0.5, v[79:80]
	v_fma_f64 v[97:98], v[97:98], -0.5, v[81:82]
	v_add_f64 v[137:138], v[117:118], -v[109:110]
	v_fma_f64 v[139:140], v[75:76], v[40:41], -v[91:92]
	v_fma_f64 v[141:142], v[77:78], v[40:41], v[99:100]
	v_add_f64 v[75:76], v[101:102], -v[115:116]
	v_add_f64 v[77:78], v[111:112], -v[95:96]
	v_add_f64 v[91:92], v[131:132], v[133:134]
	v_fma_f64 v[99:100], v[135:136], s[12:13], v[89:90]
	v_add_f64 v[131:132], v[115:116], -v[95:96]
	v_fma_f64 v[133:134], v[137:138], s[18:19], v[97:98]
	v_add_f64 v[143:144], v[113:114], -v[93:94]
	v_fma_f64 v[89:90], v[135:136], s[18:19], v[89:90]
	v_add_f64 v[145:146], v[79:80], v[117:118]
	v_add_f64 v[147:148], v[81:82], v[101:102]
	v_fma_f64 v[97:98], v[137:138], s[12:13], v[97:98]
	v_add_f64 v[149:150], v[75:76], v[77:78]
	v_add_f64 v[77:78], v[117:118], v[109:110]
	v_fma_f64 v[75:76], v[131:132], s[14:15], v[99:100]
	v_fma_f64 v[99:100], v[143:144], s[16:17], v[133:134]
	;; [unrolled: 1-line block ×3, first 2 shown]
	v_add_f64 v[133:134], v[145:146], v[113:114]
	v_add_f64 v[145:146], v[147:148], v[115:116]
	v_fma_f64 v[97:98], v[143:144], s[14:15], v[97:98]
	v_add_f64 v[147:148], v[101:102], v[111:112]
	v_fma_f64 v[79:80], v[77:78], -0.5, v[79:80]
	v_fma_f64 v[75:76], v[91:92], s[6:7], v[75:76]
	v_fma_f64 v[77:78], v[149:150], s[6:7], v[99:100]
	;; [unrolled: 1-line block ×3, first 2 shown]
	v_add_f64 v[99:100], v[133:134], v[93:94]
	v_add_f64 v[133:134], v[145:146], v[95:96]
	v_fma_f64 v[91:92], v[149:150], s[6:7], v[97:98]
	v_fma_f64 v[97:98], v[147:148], -0.5, v[81:82]
	v_add_f64 v[113:114], v[113:114], -v[117:118]
	v_add_f64 v[93:94], v[93:94], -v[109:110]
	v_fma_f64 v[117:118], v[131:132], s[18:19], v[79:80]
	v_fma_f64 v[131:132], v[131:132], s[12:13], v[79:80]
	v_add_f64 v[79:80], v[99:100], v[109:110]
	v_add_f64 v[81:82], v[133:134], v[111:112]
	v_add_f64 v[99:100], v[115:116], -v[101:102]
	v_add_f64 v[95:96], v[95:96], -v[111:112]
	v_fma_f64 v[101:102], v[143:144], s[12:13], v[97:98]
	v_add_f64 v[109:110], v[123:124], v[127:128]
	v_add_f64 v[111:112], v[113:114], v[93:94]
	;; [unrolled: 1-line block ×3, first 2 shown]
	v_fma_f64 v[97:98], v[143:144], s[18:19], v[97:98]
	v_fma_f64 v[113:114], v[135:136], s[14:15], v[117:118]
	v_fma_f64 v[115:116], v[135:136], s[16:17], v[131:132]
	v_add_f64 v[99:100], v[99:100], v[95:96]
	v_fma_f64 v[95:96], v[137:138], s[16:17], v[101:102]
	s_waitcnt lgkmcnt(0)
	v_fma_f64 v[101:102], v[109:110], -0.5, v[83:84]
	v_add_f64 v[109:110], v[121:122], -v[141:142]
	v_fma_f64 v[131:132], v[93:94], -0.5, v[85:86]
	v_add_f64 v[133:134], v[119:120], -v[139:140]
	v_fma_f64 v[117:118], v[137:138], s[14:15], v[97:98]
	v_fma_f64 v[93:94], v[111:112], s[6:7], v[113:114]
	v_add_f64 v[113:114], v[119:120], -v[123:124]
	v_add_f64 v[135:136], v[139:140], -v[127:128]
	;; [unrolled: 1-line block ×4, first 2 shown]
	v_fma_f64 v[143:144], v[109:110], s[12:13], v[101:102]
	v_add_f64 v[145:146], v[125:126], -v[129:130]
	v_fma_f64 v[149:150], v[133:134], s[18:19], v[131:132]
	v_add_f64 v[151:152], v[123:124], -v[127:128]
	v_fma_f64 v[95:96], v[99:100], s[6:7], v[95:96]
	v_fma_f64 v[97:98], v[111:112], s[6:7], v[115:116]
	;; [unrolled: 1-line block ×3, first 2 shown]
	v_add_f64 v[115:116], v[113:114], v[135:136]
	v_add_f64 v[113:114], v[119:120], v[139:140]
	;; [unrolled: 1-line block ×4, first 2 shown]
	v_fma_f64 v[111:112], v[145:146], s[14:15], v[143:144]
	v_fma_f64 v[135:136], v[151:152], s[16:17], v[149:150]
	v_add_f64 v[143:144], v[83:84], v[119:120]
	v_add_f64 v[147:148], v[85:86], v[121:122]
	v_fma_f64 v[101:102], v[109:110], s[18:19], v[101:102]
	v_fma_f64 v[83:84], v[113:114], -0.5, v[83:84]
	v_fma_f64 v[131:132], v[133:134], s[12:13], v[131:132]
	v_fma_f64 v[85:86], v[137:138], -0.5, v[85:86]
	v_add_f64 v[119:120], v[123:124], -v[119:120]
	v_fma_f64 v[113:114], v[117:118], s[6:7], v[135:136]
	v_add_f64 v[135:136], v[143:144], v[123:124]
	v_add_f64 v[137:138], v[147:148], v[125:126]
	v_add_f64 v[143:144], v[127:128], -v[139:140]
	v_fma_f64 v[123:124], v[145:146], s[18:19], v[83:84]
	v_add_f64 v[121:122], v[125:126], -v[121:122]
	v_add_f64 v[125:126], v[129:130], -v[141:142]
	v_fma_f64 v[147:148], v[151:152], s[12:13], v[85:86]
	v_fma_f64 v[83:84], v[145:146], s[12:13], v[83:84]
	;; [unrolled: 1-line block ×5, first 2 shown]
	v_add_f64 v[127:128], v[135:136], v[127:128]
	v_add_f64 v[129:130], v[137:138], v[129:130]
	;; [unrolled: 1-line block ×3, first 2 shown]
	v_fma_f64 v[119:120], v[109:110], s[14:15], v[123:124]
	v_add_f64 v[125:126], v[121:122], v[125:126]
	v_fma_f64 v[121:122], v[133:134], s[16:17], v[147:148]
	v_fma_f64 v[109:110], v[109:110], s[16:17], v[83:84]
	;; [unrolled: 1-line block ×6, first 2 shown]
	v_add_f64 v[115:116], v[127:128], v[139:140]
	v_add_f64 v[117:118], v[129:130], v[141:142]
	v_fma_f64 v[119:120], v[135:136], s[6:7], v[119:120]
	v_fma_f64 v[121:122], v[125:126], s[6:7], v[121:122]
	;; [unrolled: 1-line block ×4, first 2 shown]
	v_lshl_add_u32 v109, v73, 4, v72
	v_mul_u32_u24_e32 v73, 50, v87
	v_add_u32_sdwa v73, v73, v103 dst_sel:DWORD dst_unused:UNUSED_PAD src0_sel:DWORD src1_sel:BYTE_0
	s_barrier
	ds_write_b128 v109, v[79:82]
	ds_write_b128 v109, v[75:78] offset:160
	ds_write_b128 v109, v[93:96] offset:320
	;; [unrolled: 1-line block ×4, first 2 shown]
	v_lshl_add_u32 v110, v73, 4, v72
	v_lshlrev_b32_e32 v89, 6, v105
	ds_write_b128 v110, v[115:118]
	ds_write_b128 v110, v[111:114] offset:160
	ds_write_b128 v110, v[119:122] offset:320
	;; [unrolled: 1-line block ×4, first 2 shown]
	s_waitcnt lgkmcnt(0)
	s_barrier
	global_load_dwordx4 v[80:83], v89, s[10:11] offset:640
	global_load_dwordx4 v[76:79], v89, s[10:11] offset:656
	;; [unrolled: 1-line block ×4, first 2 shown]
	v_lshlrev_b32_e32 v111, 6, v88
	global_load_dwordx4 v[88:91], v111, s[10:11] offset:640
	global_load_dwordx4 v[100:103], v111, s[10:11] offset:656
	;; [unrolled: 1-line block ×4, first 2 shown]
	ds_read_b128 v[111:114], v106 offset:800
	ds_read_b128 v[115:118], v106 offset:1200
	;; [unrolled: 1-line block ×6, first 2 shown]
	s_waitcnt vmcnt(7) lgkmcnt(5)
	v_mul_f64 v[135:136], v[113:114], v[82:83]
	v_mul_f64 v[137:138], v[111:112], v[82:83]
	s_waitcnt vmcnt(6) lgkmcnt(3)
	v_mul_f64 v[139:140], v[121:122], v[78:79]
	v_mul_f64 v[141:142], v[119:120], v[78:79]
	;; [unrolled: 3-line block ×4, first 2 shown]
	v_fma_f64 v[135:136], v[111:112], v[80:81], -v[135:136]
	v_fma_f64 v[137:138], v[113:114], v[80:81], v[137:138]
	ds_read_b128 v[111:114], v106 offset:3200
	v_fma_f64 v[139:140], v[119:120], v[76:77], -v[139:140]
	v_fma_f64 v[141:142], v[121:122], v[76:77], v[141:142]
	v_fma_f64 v[143:144], v[123:124], v[72:73], -v[143:144]
	v_fma_f64 v[145:146], v[125:126], v[72:73], v[145:146]
	s_waitcnt lgkmcnt(0)
	v_mul_f64 v[123:124], v[113:114], v[86:87]
	v_mul_f64 v[125:126], v[111:112], v[86:87]
	ds_read_b128 v[119:122], v106 offset:3600
	v_mul_f64 v[147:148], v[117:118], v[90:91]
	v_mul_f64 v[149:150], v[115:116], v[90:91]
	s_waitcnt vmcnt(1)
	v_mul_f64 v[155:156], v[133:134], v[94:95]
	v_mul_f64 v[157:158], v[131:132], v[94:95]
	v_fma_f64 v[151:152], v[127:128], v[100:101], -v[151:152]
	v_fma_f64 v[159:160], v[111:112], v[84:85], -v[123:124]
	v_fma_f64 v[161:162], v[113:114], v[84:85], v[125:126]
	v_add_f64 v[123:124], v[139:140], v[143:144]
	v_add_f64 v[127:128], v[141:142], v[145:146]
	v_fma_f64 v[153:154], v[129:130], v[100:101], v[153:154]
	s_waitcnt vmcnt(0) lgkmcnt(0)
	v_mul_f64 v[125:126], v[121:122], v[98:99]
	v_mul_f64 v[129:130], v[119:120], v[98:99]
	ds_read_b128 v[111:114], v106
	v_fma_f64 v[147:148], v[115:116], v[88:89], -v[147:148]
	v_fma_f64 v[149:150], v[117:118], v[88:89], v[149:150]
	ds_read_b128 v[115:118], v106 offset:400
	v_fma_f64 v[155:156], v[131:132], v[92:93], -v[155:156]
	v_fma_f64 v[157:158], v[133:134], v[92:93], v[157:158]
	v_add_f64 v[131:132], v[135:136], -v[139:140]
	v_add_f64 v[133:134], v[159:160], -v[143:144]
	s_waitcnt lgkmcnt(1)
	v_fma_f64 v[123:124], v[123:124], -0.5, v[111:112]
	v_add_f64 v[163:164], v[137:138], -v[161:162]
	v_fma_f64 v[127:128], v[127:128], -0.5, v[113:114]
	v_add_f64 v[165:166], v[135:136], -v[159:160]
	v_fma_f64 v[167:168], v[119:120], v[96:97], -v[125:126]
	v_fma_f64 v[169:170], v[121:122], v[96:97], v[129:130]
	v_add_f64 v[119:120], v[137:138], -v[141:142]
	v_add_f64 v[121:122], v[161:162], -v[145:146]
	v_add_f64 v[125:126], v[131:132], v[133:134]
	v_fma_f64 v[129:130], v[163:164], s[12:13], v[123:124]
	v_add_f64 v[131:132], v[141:142], -v[145:146]
	v_fma_f64 v[133:134], v[165:166], s[18:19], v[127:128]
	v_add_f64 v[171:172], v[139:140], -v[143:144]
	v_fma_f64 v[123:124], v[163:164], s[18:19], v[123:124]
	v_add_f64 v[173:174], v[111:112], v[135:136]
	v_add_f64 v[175:176], v[113:114], v[137:138]
	v_fma_f64 v[127:128], v[165:166], s[12:13], v[127:128]
	v_add_f64 v[177:178], v[119:120], v[121:122]
	v_add_f64 v[121:122], v[135:136], v[159:160]
	v_fma_f64 v[119:120], v[131:132], s[14:15], v[129:130]
	v_fma_f64 v[129:130], v[171:172], s[16:17], v[133:134]
	v_fma_f64 v[123:124], v[131:132], s[16:17], v[123:124]
	v_add_f64 v[133:134], v[173:174], v[139:140]
	v_add_f64 v[173:174], v[175:176], v[141:142]
	v_fma_f64 v[127:128], v[171:172], s[14:15], v[127:128]
	v_add_f64 v[175:176], v[137:138], v[161:162]
	v_fma_f64 v[111:112], v[121:122], -0.5, v[111:112]
	v_fma_f64 v[119:120], v[125:126], s[6:7], v[119:120]
	v_fma_f64 v[121:122], v[177:178], s[6:7], v[129:130]
	;; [unrolled: 1-line block ×3, first 2 shown]
	v_add_f64 v[129:130], v[133:134], v[143:144]
	v_add_f64 v[133:134], v[173:174], v[145:146]
	v_fma_f64 v[125:126], v[177:178], s[6:7], v[127:128]
	v_fma_f64 v[127:128], v[175:176], -0.5, v[113:114]
	v_add_f64 v[135:136], v[139:140], -v[135:136]
	v_add_f64 v[143:144], v[143:144], -v[159:160]
	v_fma_f64 v[139:140], v[131:132], s[18:19], v[111:112]
	v_fma_f64 v[131:132], v[131:132], s[12:13], v[111:112]
	v_add_f64 v[111:112], v[129:130], v[159:160]
	v_add_f64 v[113:114], v[133:134], v[161:162]
	v_add_f64 v[129:130], v[141:142], -v[137:138]
	v_add_f64 v[133:134], v[145:146], -v[161:162]
	v_fma_f64 v[137:138], v[171:172], s[12:13], v[127:128]
	v_add_f64 v[141:142], v[151:152], v[155:156]
	v_fma_f64 v[127:128], v[171:172], s[18:19], v[127:128]
	v_add_f64 v[135:136], v[135:136], v[143:144]
	v_add_f64 v[143:144], v[153:154], v[157:158]
	v_fma_f64 v[139:140], v[163:164], s[14:15], v[139:140]
	v_add_f64 v[159:160], v[147:148], -v[167:168]
	v_add_f64 v[133:134], v[129:130], v[133:134]
	v_fma_f64 v[129:130], v[165:166], s[16:17], v[137:138]
	s_waitcnt lgkmcnt(0)
	v_fma_f64 v[137:138], v[141:142], -0.5, v[115:116]
	v_add_f64 v[141:142], v[149:150], -v[169:170]
	v_fma_f64 v[145:146], v[165:166], s[14:15], v[127:128]
	v_fma_f64 v[143:144], v[143:144], -0.5, v[117:118]
	v_fma_f64 v[131:132], v[163:164], s[16:17], v[131:132]
	v_fma_f64 v[127:128], v[135:136], s[6:7], v[139:140]
	v_add_f64 v[139:140], v[147:148], -v[151:152]
	v_add_f64 v[161:162], v[167:168], -v[155:156]
	;; [unrolled: 1-line block ×4, first 2 shown]
	v_fma_f64 v[165:166], v[141:142], s[12:13], v[137:138]
	v_add_f64 v[171:172], v[153:154], -v[157:158]
	v_fma_f64 v[175:176], v[159:160], s[18:19], v[143:144]
	v_add_f64 v[177:178], v[151:152], -v[155:156]
	v_fma_f64 v[129:130], v[133:134], s[6:7], v[129:130]
	v_fma_f64 v[133:134], v[133:134], s[6:7], v[145:146]
	v_add_f64 v[145:146], v[147:148], v[167:168]
	v_add_f64 v[139:140], v[139:140], v[161:162]
	;; [unrolled: 1-line block ×4, first 2 shown]
	v_fma_f64 v[131:132], v[135:136], s[6:7], v[131:132]
	v_fma_f64 v[135:136], v[171:172], s[14:15], v[165:166]
	;; [unrolled: 1-line block ×4, first 2 shown]
	v_add_f64 v[175:176], v[115:116], v[147:148]
	v_fma_f64 v[115:116], v[145:146], -0.5, v[115:116]
	v_add_f64 v[145:146], v[117:118], v[149:150]
	v_fma_f64 v[117:118], v[173:174], -0.5, v[117:118]
	v_fma_f64 v[143:144], v[159:160], s[12:13], v[143:144]
	v_add_f64 v[147:148], v[151:152], -v[147:148]
	v_fma_f64 v[137:138], v[161:162], s[6:7], v[163:164]
	v_fma_f64 v[163:164], v[171:172], s[16:17], v[165:166]
	v_add_f64 v[165:166], v[175:176], v[151:152]
	v_fma_f64 v[151:152], v[171:172], s[18:19], v[115:116]
	v_add_f64 v[145:146], v[145:146], v[153:154]
	v_add_f64 v[173:174], v[155:156], -v[167:168]
	v_add_f64 v[149:150], v[153:154], -v[149:150]
	;; [unrolled: 1-line block ×3, first 2 shown]
	v_fma_f64 v[175:176], v[177:178], s[12:13], v[117:118]
	v_fma_f64 v[115:116], v[171:172], s[12:13], v[115:116]
	;; [unrolled: 1-line block ×3, first 2 shown]
	v_add_f64 v[155:156], v[165:166], v[155:156]
	v_add_f64 v[145:146], v[145:146], v[157:158]
	v_fma_f64 v[143:144], v[177:178], s[14:15], v[143:144]
	v_add_f64 v[147:148], v[147:148], v[173:174]
	v_fma_f64 v[151:152], v[141:142], s[14:15], v[151:152]
	;; [unrolled: 2-line block ×3, first 2 shown]
	v_fma_f64 v[157:158], v[141:142], s[16:17], v[115:116]
	v_fma_f64 v[159:160], v[159:160], s[14:15], v[117:118]
	;; [unrolled: 1-line block ×4, first 2 shown]
	v_add_f64 v[139:140], v[155:156], v[167:168]
	v_add_f64 v[141:142], v[145:146], v[169:170]
	v_fma_f64 v[117:118], v[161:162], s[6:7], v[143:144]
	v_fma_f64 v[143:144], v[147:148], s[6:7], v[151:152]
	;; [unrolled: 1-line block ×5, first 2 shown]
	ds_write_b128 v106, v[111:114]
	ds_write_b128 v106, v[119:122] offset:800
	ds_write_b128 v106, v[127:130] offset:1600
	;; [unrolled: 1-line block ×9, first 2 shown]
	s_waitcnt lgkmcnt(0)
	s_barrier
	global_load_dwordx4 v[111:114], v107, s[8:9] offset:4000
	global_load_dwordx4 v[115:118], v107, s[20:21] offset:400
	;; [unrolled: 1-line block ×10, first 2 shown]
	ds_read_b128 v[151:154], v106
	ds_read_b128 v[155:158], v106 offset:400
	ds_read_b128 v[159:162], v106 offset:800
	s_waitcnt vmcnt(9) lgkmcnt(2)
	v_mul_f64 v[163:164], v[153:154], v[113:114]
	v_mul_f64 v[113:114], v[151:152], v[113:114]
	s_waitcnt vmcnt(8) lgkmcnt(1)
	v_mul_f64 v[165:166], v[157:158], v[117:118]
	v_mul_f64 v[117:118], v[155:156], v[117:118]
	v_fma_f64 v[151:152], v[151:152], v[111:112], -v[163:164]
	v_fma_f64 v[153:154], v[153:154], v[111:112], v[113:114]
	v_fma_f64 v[111:112], v[155:156], v[115:116], -v[165:166]
	ds_read_b128 v[163:166], v106 offset:1200
	s_waitcnt vmcnt(7) lgkmcnt(1)
	v_mul_f64 v[167:168], v[161:162], v[121:122]
	v_fma_f64 v[113:114], v[157:158], v[115:116], v[117:118]
	ds_read_b128 v[115:118], v106 offset:1600
	ds_read_b128 v[155:158], v106 offset:2000
	v_mul_f64 v[121:122], v[159:160], v[121:122]
	s_waitcnt vmcnt(6) lgkmcnt(2)
	v_mul_f64 v[169:170], v[165:166], v[125:126]
	v_mul_f64 v[125:126], v[163:164], v[125:126]
	s_waitcnt vmcnt(5) lgkmcnt(1)
	v_mul_f64 v[171:172], v[117:118], v[129:130]
	v_fma_f64 v[159:160], v[159:160], v[119:120], -v[167:168]
	v_mul_f64 v[129:130], v[115:116], v[129:130]
	s_waitcnt vmcnt(4) lgkmcnt(0)
	v_mul_f64 v[167:168], v[157:158], v[133:134]
	v_mul_f64 v[133:134], v[155:156], v[133:134]
	v_fma_f64 v[161:162], v[161:162], v[119:120], v[121:122]
	v_fma_f64 v[119:120], v[163:164], v[123:124], -v[169:170]
	v_fma_f64 v[121:122], v[165:166], v[123:124], v[125:126]
	ds_read_b128 v[123:126], v106 offset:2400
	v_fma_f64 v[115:116], v[115:116], v[127:128], -v[171:172]
	v_fma_f64 v[117:118], v[117:118], v[127:128], v[129:130]
	v_fma_f64 v[127:128], v[155:156], v[131:132], -v[167:168]
	v_fma_f64 v[129:130], v[157:158], v[131:132], v[133:134]
	ds_read_b128 v[131:134], v106 offset:2800
	ds_read_b128 v[155:158], v106 offset:3200
	;; [unrolled: 1-line block ×3, first 2 shown]
	s_waitcnt vmcnt(3) lgkmcnt(3)
	v_mul_f64 v[167:168], v[125:126], v[137:138]
	v_mul_f64 v[137:138], v[123:124], v[137:138]
	s_waitcnt vmcnt(2) lgkmcnt(2)
	v_mul_f64 v[169:170], v[133:134], v[141:142]
	v_mul_f64 v[141:142], v[131:132], v[141:142]
	;; [unrolled: 3-line block ×4, first 2 shown]
	v_fma_f64 v[123:124], v[123:124], v[135:136], -v[167:168]
	v_fma_f64 v[125:126], v[125:126], v[135:136], v[137:138]
	v_fma_f64 v[131:132], v[131:132], v[139:140], -v[169:170]
	v_fma_f64 v[133:134], v[133:134], v[139:140], v[141:142]
	;; [unrolled: 2-line block ×4, first 2 shown]
	ds_write_b128 v106, v[151:154]
	ds_write_b128 v106, v[111:114] offset:400
	ds_write_b128 v106, v[159:162] offset:800
	;; [unrolled: 1-line block ×9, first 2 shown]
	s_waitcnt lgkmcnt(0)
	s_barrier
	ds_read_b128 v[111:114], v106 offset:800
	ds_read_b128 v[115:118], v106
	ds_read_b128 v[119:122], v106 offset:400
	ds_read_b128 v[123:126], v106 offset:1200
	;; [unrolled: 1-line block ×6, first 2 shown]
	s_waitcnt lgkmcnt(6)
	v_add_f64 v[139:140], v[115:116], v[111:112]
	v_add_f64 v[141:142], v[117:118], v[113:114]
	s_waitcnt lgkmcnt(3)
	v_add_f64 v[155:156], v[111:112], -v[127:128]
	v_add_f64 v[157:158], v[127:128], -v[111:112]
	;; [unrolled: 1-line block ×4, first 2 shown]
	s_waitcnt lgkmcnt(0)
	v_add_f64 v[167:168], v[113:114], -v[145:146]
	v_add_f64 v[169:170], v[111:112], v[143:144]
	v_add_f64 v[147:148], v[139:140], v[127:128]
	;; [unrolled: 1-line block ×3, first 2 shown]
	ds_read_b128 v[139:142], v106 offset:2800
	v_add_f64 v[171:172], v[111:112], -v[143:144]
	v_add_f64 v[111:112], v[113:114], v[145:146]
	v_add_f64 v[151:152], v[127:128], v[131:132]
	v_add_f64 v[161:162], v[127:128], -v[131:132]
	v_add_f64 v[173:174], v[121:122], v[125:126]
	v_add_f64 v[113:114], v[147:148], v[131:132]
	;; [unrolled: 1-line block ×4, first 2 shown]
	v_add_f64 v[175:176], v[143:144], -v[131:132]
	v_add_f64 v[131:132], v[131:132], -v[143:144]
	s_waitcnt lgkmcnt(0)
	v_add_f64 v[179:180], v[137:138], v[141:142]
	v_add_f64 v[153:154], v[129:130], -v[133:134]
	v_add_f64 v[159:160], v[129:130], v[133:134]
	v_add_f64 v[143:144], v[113:114], v[143:144]
	ds_read_b128 v[127:130], v106 offset:3600
	v_add_f64 v[113:114], v[149:150], v[135:136]
	v_add_f64 v[149:150], v[135:136], v[139:140]
	v_add_f64 v[177:178], v[145:146], -v[133:134]
	v_add_f64 v[133:134], v[133:134], -v[145:146]
	v_add_f64 v[145:146], v[147:148], v[145:146]
	v_add_f64 v[147:148], v[173:174], v[137:138]
	s_waitcnt lgkmcnt(0)
	v_add_f64 v[187:188], v[125:126], -v[129:130]
	v_add_f64 v[189:190], v[123:124], -v[127:128]
	v_fma_f64 v[179:180], v[179:180], -0.5, v[121:122]
	v_add_f64 v[113:114], v[113:114], v[139:140]
	v_fma_f64 v[149:150], v[149:150], -0.5, v[119:120]
	v_add_f64 v[173:174], v[137:138], -v[141:142]
	v_add_f64 v[181:182], v[123:124], -v[135:136]
	;; [unrolled: 1-line block ×6, first 2 shown]
	v_add_f64 v[123:124], v[123:124], v[127:128]
	v_add_f64 v[125:126], v[125:126], v[129:130]
	;; [unrolled: 1-line block ×3, first 2 shown]
	v_add_f64 v[191:192], v[127:128], -v[139:140]
	v_add_f64 v[193:194], v[129:130], -v[141:142]
	v_fma_f64 v[195:196], v[189:190], s[12:13], v[179:180]
	v_add_f64 v[139:140], v[139:140], -v[127:128]
	v_add_f64 v[127:128], v[113:114], v[127:128]
	v_fma_f64 v[113:114], v[187:188], s[18:19], v[149:150]
	v_add_f64 v[141:142], v[141:142], -v[129:130]
	v_add_f64 v[129:130], v[147:148], v[129:130]
	v_fma_f64 v[147:148], v[151:152], -0.5, v[115:116]
	v_add_f64 v[151:152], v[185:186], v[193:194]
	v_fma_f64 v[185:186], v[135:136], s[14:15], v[195:196]
	v_fma_f64 v[125:126], v[125:126], -0.5, v[121:122]
	v_add_f64 v[181:182], v[181:182], v[191:192]
	v_fma_f64 v[121:122], v[173:174], s[16:17], v[113:114]
	v_fma_f64 v[159:160], v[159:160], -0.5, v[117:118]
	v_fma_f64 v[191:192], v[111:112], -0.5, v[117:118]
	;; [unrolled: 1-line block ×4, first 2 shown]
	v_fma_f64 v[117:118], v[151:152], s[6:7], v[185:186]
	v_fma_f64 v[119:120], v[135:136], s[18:19], v[125:126]
	v_add_f64 v[111:112], v[143:144], v[127:128]
	v_fma_f64 v[121:122], v[181:182], s[6:7], v[121:122]
	v_add_f64 v[115:116], v[143:144], -v[127:128]
	v_add_f64 v[143:144], v[155:156], v[175:176]
	v_fma_f64 v[155:156], v[171:172], s[12:13], v[159:160]
	v_add_f64 v[137:138], v[137:138], v[141:142]
	v_mul_f64 v[127:128], v[117:118], s[16:17]
	v_fma_f64 v[141:142], v[173:174], s[12:13], v[193:194]
	v_fma_f64 v[119:120], v[189:190], s[14:15], v[119:120]
	v_mul_f64 v[175:176], v[121:122], s[14:15]
	v_add_f64 v[139:140], v[183:184], v[139:140]
	v_add_f64 v[163:164], v[163:164], v[177:178]
	v_add_f64 v[131:132], v[157:158], v[131:132]
	v_add_f64 v[133:134], v[165:166], v[133:134]
	v_fma_f64 v[127:128], v[121:122], s[26:27], v[127:128]
	v_fma_f64 v[121:122], v[161:162], s[14:15], v[155:156]
	;; [unrolled: 1-line block ×7, first 2 shown]
	v_add_f64 v[113:114], v[145:146], v[129:130]
	v_fma_f64 v[149:150], v[187:188], s[12:13], v[149:150]
	v_fma_f64 v[177:178], v[163:164], s[6:7], v[121:122]
	;; [unrolled: 1-line block ×3, first 2 shown]
	v_mul_f64 v[157:158], v[119:120], s[18:19]
	v_mul_f64 v[165:166], v[119:120], s[6:7]
	v_fma_f64 v[175:176], v[171:172], s[14:15], v[175:176]
	v_fma_f64 v[183:184], v[167:168], s[16:17], v[117:118]
	v_add_f64 v[117:118], v[145:146], -v[129:130]
	v_fma_f64 v[129:130], v[135:136], s[12:13], v[125:126]
	v_add_f64 v[121:122], v[177:178], v[155:156]
	v_add_f64 v[125:126], v[177:178], -v[155:156]
	v_fma_f64 v[145:146], v[141:142], s[6:7], v[157:158]
	v_fma_f64 v[141:142], v[141:142], s[12:13], v[165:166]
	;; [unrolled: 1-line block ×22, first 2 shown]
	v_mul_f64 v[155:156], v[137:138], s[18:19]
	v_mul_f64 v[137:138], v[137:138], s[22:23]
	v_fma_f64 v[149:150], v[181:182], s[6:7], v[149:150]
	v_fma_f64 v[123:124], v[143:144], s[6:7], v[123:124]
	;; [unrolled: 1-line block ×3, first 2 shown]
	v_mul_f64 v[159:160], v[135:136], s[16:17]
	v_mul_f64 v[135:136], v[135:136], s[24:25]
	v_fma_f64 v[161:162], v[131:132], s[6:7], v[169:170]
	v_fma_f64 v[151:152], v[133:134], s[6:7], v[151:152]
	;; [unrolled: 1-line block ×8, first 2 shown]
	v_add_f64 v[119:120], v[123:124], v[127:128]
	v_add_f64 v[123:124], v[123:124], -v[127:128]
	v_add_f64 v[127:128], v[157:158], v[145:146]
	v_add_f64 v[129:130], v[165:166], v[141:142]
	;; [unrolled: 1-line block ×4, first 2 shown]
	v_add_f64 v[131:132], v[157:158], -v[145:146]
	v_add_f64 v[143:144], v[147:148], v[159:160]
	v_add_f64 v[145:146], v[153:154], v[149:150]
	v_add_f64 v[133:134], v[165:166], -v[141:142]
	v_add_f64 v[139:140], v[161:162], -v[155:156]
	;; [unrolled: 1-line block ×5, first 2 shown]
	s_barrier
	ds_write_b128 v108, v[111:114]
	ds_write_b128 v108, v[119:122] offset:16
	ds_write_b128 v108, v[127:130] offset:32
	;; [unrolled: 1-line block ×9, first 2 shown]
	s_waitcnt lgkmcnt(0)
	s_barrier
	ds_read_b128 v[111:114], v106 offset:800
	ds_read_b128 v[115:118], v106 offset:1200
	;; [unrolled: 1-line block ×6, first 2 shown]
	s_waitcnt lgkmcnt(5)
	v_mul_f64 v[107:108], v[58:59], v[113:114]
	v_mul_f64 v[58:59], v[58:59], v[111:112]
	s_waitcnt lgkmcnt(3)
	v_mul_f64 v[135:136], v[54:55], v[121:122]
	v_mul_f64 v[137:138], v[54:55], v[119:120]
	;; [unrolled: 3-line block ×3, first 2 shown]
	v_fma_f64 v[107:108], v[56:57], v[111:112], v[107:108]
	v_fma_f64 v[58:59], v[56:57], v[113:114], -v[58:59]
	ds_read_b128 v[54:57], v106 offset:3200
	v_fma_f64 v[111:112], v[52:53], v[119:120], v[135:136]
	v_fma_f64 v[113:114], v[52:53], v[121:122], -v[137:138]
	v_fma_f64 v[119:120], v[48:49], v[123:124], v[139:140]
	v_fma_f64 v[121:122], v[48:49], v[125:126], -v[50:51]
	s_waitcnt lgkmcnt(0)
	v_mul_f64 v[52:53], v[46:47], v[56:57]
	v_mul_f64 v[46:47], v[46:47], v[54:55]
	;; [unrolled: 1-line block ×8, first 2 shown]
	v_fma_f64 v[137:138], v[44:45], v[54:55], v[52:53]
	v_fma_f64 v[56:57], v[44:45], v[56:57], -v[46:47]
	v_fma_f64 v[115:116], v[68:69], v[115:116], v[123:124]
	v_fma_f64 v[68:69], v[68:69], v[117:118], -v[70:71]
	;; [unrolled: 2-line block ×4, first 2 shown]
	v_add_f64 v[60:61], v[111:112], v[119:120]
	v_add_f64 v[64:65], v[113:114], v[121:122]
	ds_read_b128 v[48:51], v106 offset:3600
	ds_read_b128 v[44:47], v106
	ds_read_b128 v[52:55], v106 offset:400
	v_add_f64 v[66:67], v[107:108], -v[111:112]
	v_add_f64 v[127:128], v[137:138], -v[119:120]
	s_waitcnt lgkmcnt(2)
	v_mul_f64 v[62:63], v[42:43], v[50:51]
	v_mul_f64 v[42:43], v[42:43], v[48:49]
	s_waitcnt lgkmcnt(1)
	v_fma_f64 v[60:61], v[60:61], -0.5, v[44:45]
	v_add_f64 v[129:130], v[58:59], -v[56:57]
	v_fma_f64 v[64:65], v[64:65], -0.5, v[46:47]
	v_add_f64 v[131:132], v[107:108], -v[137:138]
	v_add_f64 v[139:140], v[44:45], v[107:108]
	v_add_f64 v[141:142], v[46:47], v[58:59]
	v_fma_f64 v[133:134], v[40:41], v[48:49], v[62:63]
	v_fma_f64 v[135:136], v[40:41], v[50:51], -v[42:43]
	v_add_f64 v[40:41], v[58:59], -v[113:114]
	v_add_f64 v[42:43], v[56:57], -v[121:122]
	v_add_f64 v[48:49], v[66:67], v[127:128]
	v_fma_f64 v[50:51], v[129:130], s[18:19], v[60:61]
	v_add_f64 v[62:63], v[113:114], -v[121:122]
	v_fma_f64 v[66:67], v[131:132], s[12:13], v[64:65]
	v_add_f64 v[127:128], v[111:112], -v[119:120]
	v_fma_f64 v[60:61], v[129:130], s[12:13], v[60:61]
	v_fma_f64 v[64:65], v[131:132], s[18:19], v[64:65]
	v_add_f64 v[143:144], v[40:41], v[42:43]
	v_add_f64 v[42:43], v[107:108], v[137:138]
	v_add_f64 v[107:108], v[111:112], -v[107:108]
	v_fma_f64 v[40:41], v[62:63], s[16:17], v[50:51]
	v_add_f64 v[145:146], v[70:71], -v[123:124]
	v_fma_f64 v[50:51], v[127:128], s[14:15], v[66:67]
	v_fma_f64 v[60:61], v[62:63], s[14:15], v[60:61]
	v_add_f64 v[66:67], v[139:140], v[111:112]
	v_add_f64 v[139:140], v[141:142], v[113:114]
	v_fma_f64 v[44:45], v[42:43], -0.5, v[44:45]
	v_fma_f64 v[64:65], v[127:128], s[16:17], v[64:65]
	v_add_f64 v[141:142], v[58:59], v[56:57]
	v_fma_f64 v[40:41], v[48:49], s[6:7], v[40:41]
	v_fma_f64 v[42:43], v[143:144], s[6:7], v[50:51]
	;; [unrolled: 1-line block ×3, first 2 shown]
	v_add_f64 v[60:61], v[66:67], v[119:120]
	v_add_f64 v[66:67], v[139:140], v[121:122]
	v_fma_f64 v[111:112], v[62:63], s[12:13], v[44:45]
	v_add_f64 v[119:120], v[119:120], -v[137:138]
	v_fma_f64 v[50:51], v[143:144], s[6:7], v[64:65]
	v_fma_f64 v[64:65], v[141:142], -0.5, v[46:47]
	v_fma_f64 v[62:63], v[62:63], s[18:19], v[44:45]
	v_add_f64 v[58:59], v[113:114], -v[58:59]
	v_add_f64 v[113:114], v[117:118], v[125:126]
	v_add_f64 v[46:47], v[66:67], v[56:57]
	;; [unrolled: 1-line block ×3, first 2 shown]
	v_add_f64 v[56:57], v[121:122], -v[56:57]
	v_add_f64 v[107:108], v[107:108], v[119:120]
	v_fma_f64 v[111:112], v[129:130], s[16:17], v[111:112]
	v_add_f64 v[44:45], v[60:61], v[137:138]
	v_fma_f64 v[60:61], v[127:128], s[18:19], v[64:65]
	v_fma_f64 v[64:65], v[127:128], s[12:13], v[64:65]
	v_add_f64 v[121:122], v[68:69], -v[135:136]
	s_waitcnt lgkmcnt(0)
	v_fma_f64 v[66:67], v[66:67], -0.5, v[52:53]
	v_fma_f64 v[62:63], v[129:130], s[14:15], v[62:63]
	v_add_f64 v[119:120], v[58:59], v[56:57]
	v_fma_f64 v[113:114], v[113:114], -0.5, v[54:55]
	v_add_f64 v[127:128], v[115:116], -v[133:134]
	v_fma_f64 v[56:57], v[107:108], s[6:7], v[111:112]
	v_add_f64 v[111:112], v[115:116], -v[70:71]
	v_add_f64 v[129:130], v[133:134], -v[123:124]
	v_fma_f64 v[64:65], v[131:132], s[16:17], v[64:65]
	v_fma_f64 v[137:138], v[121:122], s[18:19], v[66:67]
	v_add_f64 v[139:140], v[117:118], -v[125:126]
	v_fma_f64 v[58:59], v[131:132], s[14:15], v[60:61]
	v_add_f64 v[131:132], v[68:69], -v[117:118]
	v_add_f64 v[141:142], v[135:136], -v[125:126]
	v_fma_f64 v[143:144], v[127:128], s[12:13], v[113:114]
	v_fma_f64 v[60:61], v[107:108], s[6:7], v[62:63]
	v_add_f64 v[107:108], v[111:112], v[129:130]
	v_add_f64 v[111:112], v[115:116], v[133:134]
	v_fma_f64 v[62:63], v[119:120], s[6:7], v[64:65]
	v_fma_f64 v[64:65], v[139:140], s[16:17], v[137:138]
	v_add_f64 v[137:138], v[68:69], v[135:136]
	v_fma_f64 v[58:59], v[119:120], s[6:7], v[58:59]
	v_add_f64 v[119:120], v[131:132], v[141:142]
	v_fma_f64 v[129:130], v[145:146], s[14:15], v[143:144]
	v_fma_f64 v[131:132], v[121:122], s[12:13], v[66:67]
	v_add_f64 v[141:142], v[52:53], v[115:116]
	v_fma_f64 v[52:53], v[111:112], -0.5, v[52:53]
	v_add_f64 v[111:112], v[54:55], v[68:69]
	v_fma_f64 v[54:55], v[137:138], -0.5, v[54:55]
	v_fma_f64 v[113:114], v[127:128], s[18:19], v[113:114]
	v_add_f64 v[137:138], v[123:124], -v[133:134]
	v_fma_f64 v[66:67], v[119:120], s[6:7], v[129:130]
	v_fma_f64 v[129:130], v[139:140], s[14:15], v[131:132]
	v_add_f64 v[131:132], v[141:142], v[70:71]
	v_add_f64 v[70:71], v[70:71], -v[115:116]
	v_add_f64 v[111:112], v[111:112], v[117:118]
	v_fma_f64 v[115:116], v[139:140], s[12:13], v[52:53]
	v_add_f64 v[68:69], v[117:118], -v[68:69]
	v_add_f64 v[117:118], v[125:126], -v[135:136]
	v_fma_f64 v[141:142], v[145:146], s[18:19], v[54:55]
	v_fma_f64 v[52:53], v[139:140], s[18:19], v[52:53]
	;; [unrolled: 1-line block ×3, first 2 shown]
	v_add_f64 v[123:124], v[131:132], v[123:124]
	v_add_f64 v[111:112], v[111:112], v[125:126]
	v_fma_f64 v[113:114], v[145:146], s[16:17], v[113:114]
	v_add_f64 v[125:126], v[70:71], v[137:138]
	v_fma_f64 v[115:116], v[121:122], s[16:17], v[115:116]
	;; [unrolled: 2-line block ×3, first 2 shown]
	v_fma_f64 v[121:122], v[121:122], s[14:15], v[52:53]
	v_fma_f64 v[127:128], v[127:128], s[16:17], v[54:55]
	v_add_f64 v[68:69], v[123:124], v[133:134]
	v_add_f64 v[70:71], v[111:112], v[135:136]
	v_fma_f64 v[64:65], v[107:108], s[6:7], v[64:65]
	v_fma_f64 v[54:55], v[119:120], s[6:7], v[113:114]
	;; [unrolled: 1-line block ×7, first 2 shown]
	s_barrier
	ds_write_b128 v109, v[44:47]
	ds_write_b128 v109, v[40:43] offset:160
	ds_write_b128 v109, v[56:59] offset:320
	ds_write_b128 v109, v[60:63] offset:480
	ds_write_b128 v109, v[48:51] offset:640
	ds_write_b128 v110, v[68:71]
	ds_write_b128 v110, v[64:67] offset:160
	ds_write_b128 v110, v[111:114] offset:320
	;; [unrolled: 1-line block ×4, first 2 shown]
	s_waitcnt lgkmcnt(0)
	s_barrier
	ds_read_b128 v[40:43], v106 offset:800
	ds_read_b128 v[44:47], v106 offset:1200
	;; [unrolled: 1-line block ×3, first 2 shown]
	ds_read_b128 v[52:55], v106
	ds_read_b128 v[56:59], v106 offset:400
	ds_read_b128 v[60:63], v106 offset:2000
	;; [unrolled: 1-line block ×4, first 2 shown]
	s_waitcnt lgkmcnt(7)
	v_mul_f64 v[68:69], v[82:83], v[42:43]
	v_mul_f64 v[82:83], v[82:83], v[40:41]
	s_waitcnt lgkmcnt(5)
	v_mul_f64 v[111:112], v[78:79], v[50:51]
	v_mul_f64 v[78:79], v[78:79], v[48:49]
	;; [unrolled: 3-line block ×3, first 2 shown]
	v_fma_f64 v[113:114], v[80:81], v[40:41], v[68:69]
	ds_read_b128 v[68:71], v106 offset:2800
	v_fma_f64 v[80:81], v[80:81], v[42:43], -v[82:83]
	v_fma_f64 v[82:83], v[76:77], v[48:49], v[111:112]
	s_waitcnt lgkmcnt(1)
	v_mul_f64 v[48:49], v[86:87], v[109:110]
	v_fma_f64 v[50:51], v[76:77], v[50:51], -v[78:79]
	v_mul_f64 v[76:77], v[86:87], v[107:108]
	v_fma_f64 v[64:65], v[72:73], v[64:65], v[115:116]
	v_mul_f64 v[78:79], v[90:91], v[46:47]
	v_fma_f64 v[66:67], v[72:73], v[66:67], -v[74:75]
	v_mul_f64 v[74:75], v[102:103], v[62:63]
	v_add_f64 v[86:87], v[52:53], v[113:114]
	v_mul_f64 v[72:73], v[90:91], v[44:45]
	v_fma_f64 v[48:49], v[84:85], v[107:108], v[48:49]
	v_fma_f64 v[76:77], v[84:85], v[109:110], -v[76:77]
	v_add_f64 v[84:85], v[82:83], v[64:65]
	v_fma_f64 v[78:79], v[88:89], v[44:45], v[78:79]
	v_mul_f64 v[44:45], v[102:103], v[60:61]
	ds_read_b128 v[40:43], v106 offset:3600
	v_fma_f64 v[74:75], v[100:101], v[60:61], v[74:75]
	v_add_f64 v[60:61], v[86:87], v[82:83]
	v_fma_f64 v[72:73], v[88:89], v[46:47], -v[72:73]
	s_waitcnt lgkmcnt(1)
	v_mul_f64 v[46:47], v[94:95], v[70:71]
	v_mul_f64 v[86:87], v[94:95], v[68:69]
	v_fma_f64 v[84:85], v[84:85], -0.5, v[52:53]
	v_add_f64 v[88:89], v[80:81], -v[76:77]
	v_fma_f64 v[90:91], v[100:101], v[62:63], -v[44:45]
	s_waitcnt lgkmcnt(0)
	v_mul_f64 v[44:45], v[98:99], v[42:43]
	v_mul_f64 v[62:63], v[98:99], v[40:41]
	v_add_f64 v[94:95], v[113:114], v[48:49]
	v_add_f64 v[60:61], v[60:61], v[64:65]
	v_fma_f64 v[68:69], v[92:93], v[68:69], v[46:47]
	v_fma_f64 v[70:71], v[92:93], v[70:71], -v[86:87]
	v_fma_f64 v[46:47], v[88:89], s[18:19], v[84:85]
	v_add_f64 v[86:87], v[50:51], -v[66:67]
	v_fma_f64 v[92:93], v[96:97], v[40:41], v[44:45]
	v_fma_f64 v[96:97], v[96:97], v[42:43], -v[62:63]
	v_fma_f64 v[42:43], v[94:95], -0.5, v[52:53]
	v_add_f64 v[44:45], v[113:114], -v[82:83]
	v_add_f64 v[52:53], v[48:49], -v[64:65]
	v_add_f64 v[62:63], v[54:55], v[80:81]
	v_add_f64 v[40:41], v[60:61], v[48:49]
	v_fma_f64 v[60:61], v[88:89], s[12:13], v[84:85]
	v_add_f64 v[84:85], v[50:51], v[66:67]
	v_fma_f64 v[46:47], v[86:87], s[16:17], v[46:47]
	v_fma_f64 v[94:95], v[86:87], s[12:13], v[42:43]
	v_add_f64 v[98:99], v[82:83], -v[113:114]
	v_add_f64 v[52:53], v[44:45], v[52:53]
	v_add_f64 v[62:63], v[62:63], v[50:51]
	v_add_f64 v[100:101], v[64:65], -v[48:49]
	v_fma_f64 v[60:61], v[86:87], s[14:15], v[60:61]
	v_fma_f64 v[42:43], v[86:87], s[18:19], v[42:43]
	v_fma_f64 v[84:85], v[84:85], -0.5, v[54:55]
	v_add_f64 v[86:87], v[113:114], -v[48:49]
	v_fma_f64 v[94:95], v[88:89], s[16:17], v[94:95]
	v_fma_f64 v[44:45], v[52:53], s[6:7], v[46:47]
	v_add_f64 v[46:47], v[62:63], v[66:67]
	v_add_f64 v[62:63], v[80:81], v[76:77]
	;; [unrolled: 1-line block ×3, first 2 shown]
	v_fma_f64 v[42:43], v[88:89], s[14:15], v[42:43]
	v_add_f64 v[64:65], v[82:83], -v[64:65]
	v_fma_f64 v[88:89], v[86:87], s[12:13], v[84:85]
	v_add_f64 v[82:83], v[74:75], v[68:69]
	v_fma_f64 v[48:49], v[52:53], s[6:7], v[60:61]
	v_add_f64 v[100:101], v[76:77], -v[66:67]
	v_fma_f64 v[54:55], v[62:63], -0.5, v[54:55]
	v_fma_f64 v[52:53], v[98:99], s[6:7], v[94:95]
	v_add_f64 v[94:95], v[80:81], -v[50:51]
	v_fma_f64 v[60:61], v[98:99], s[6:7], v[42:43]
	v_add_f64 v[42:43], v[46:47], v[76:77]
	v_fma_f64 v[46:47], v[64:65], s[14:15], v[88:89]
	v_fma_f64 v[82:83], v[82:83], -0.5, v[56:57]
	v_add_f64 v[88:89], v[72:73], -v[96:97]
	v_add_f64 v[62:63], v[56:57], v[78:79]
	v_fma_f64 v[98:99], v[64:65], s[18:19], v[54:55]
	v_add_f64 v[50:51], v[50:51], -v[80:81]
	v_add_f64 v[66:67], v[66:67], -v[76:77]
	v_fma_f64 v[54:55], v[64:65], s[12:13], v[54:55]
	v_fma_f64 v[84:85], v[86:87], s[18:19], v[84:85]
	v_add_f64 v[94:95], v[94:95], v[100:101]
	v_fma_f64 v[76:77], v[88:89], s[18:19], v[82:83]
	v_add_f64 v[80:81], v[90:91], -v[70:71]
	v_add_f64 v[100:101], v[78:79], -v[74:75]
	;; [unrolled: 1-line block ×3, first 2 shown]
	v_add_f64 v[62:63], v[62:63], v[74:75]
	v_fma_f64 v[98:99], v[86:87], s[14:15], v[98:99]
	v_add_f64 v[66:67], v[50:51], v[66:67]
	v_fma_f64 v[86:87], v[86:87], s[16:17], v[54:55]
	v_fma_f64 v[64:65], v[64:65], s[16:17], v[84:85]
	v_add_f64 v[84:85], v[78:79], v[92:93]
	v_fma_f64 v[76:77], v[80:81], s[16:17], v[76:77]
	v_add_f64 v[100:101], v[100:101], v[102:103]
	v_add_f64 v[107:108], v[62:63], v[68:69]
	v_fma_f64 v[46:47], v[94:95], s[6:7], v[46:47]
	v_fma_f64 v[54:55], v[66:67], s[6:7], v[98:99]
	;; [unrolled: 1-line block ×3, first 2 shown]
	v_add_f64 v[66:67], v[90:91], v[70:71]
	v_fma_f64 v[50:51], v[94:95], s[6:7], v[64:65]
	v_add_f64 v[94:95], v[72:73], v[96:97]
	v_fma_f64 v[84:85], v[84:85], -0.5, v[56:57]
	v_fma_f64 v[64:65], v[100:101], s[6:7], v[76:77]
	v_fma_f64 v[76:77], v[88:89], s[12:13], v[82:83]
	v_add_f64 v[102:103], v[58:59], v[72:73]
	v_add_f64 v[86:87], v[74:75], -v[78:79]
	v_add_f64 v[98:99], v[68:69], -v[92:93]
	v_fma_f64 v[66:67], v[66:67], -0.5, v[58:59]
	v_add_f64 v[78:79], v[78:79], -v[92:93]
	v_add_f64 v[68:69], v[74:75], -v[68:69]
	v_fma_f64 v[58:59], v[94:95], -0.5, v[58:59]
	v_fma_f64 v[82:83], v[80:81], s[12:13], v[84:85]
	v_fma_f64 v[76:77], v[80:81], s[14:15], v[76:77]
	;; [unrolled: 1-line block ×3, first 2 shown]
	v_add_f64 v[84:85], v[102:103], v[90:91]
	v_add_f64 v[56:57], v[107:108], v[92:93]
	;; [unrolled: 1-line block ×3, first 2 shown]
	v_fma_f64 v[86:87], v[78:79], s[12:13], v[66:67]
	v_add_f64 v[92:93], v[72:73], -v[90:91]
	v_add_f64 v[94:95], v[96:97], -v[70:71]
	v_fma_f64 v[98:99], v[68:69], s[18:19], v[58:59]
	v_add_f64 v[72:73], v[90:91], -v[72:73]
	v_add_f64 v[90:91], v[70:71], -v[96:97]
	v_fma_f64 v[66:67], v[78:79], s[18:19], v[66:67]
	v_fma_f64 v[58:59], v[68:69], s[12:13], v[58:59]
	v_add_f64 v[70:71], v[84:85], v[70:71]
	v_fma_f64 v[84:85], v[68:69], s[14:15], v[86:87]
	v_add_f64 v[86:87], v[92:93], v[94:95]
	v_fma_f64 v[82:83], v[88:89], s[16:17], v[82:83]
	v_fma_f64 v[80:81], v[88:89], s[14:15], v[80:81]
	;; [unrolled: 1-line block ×3, first 2 shown]
	v_add_f64 v[90:91], v[72:73], v[90:91]
	v_fma_f64 v[88:89], v[68:69], s[16:17], v[66:67]
	v_fma_f64 v[78:79], v[78:79], s[16:17], v[58:59]
	v_add_f64 v[58:59], v[70:71], v[96:97]
	v_fma_f64 v[66:67], v[86:87], s[6:7], v[84:85]
	v_fma_f64 v[68:69], v[100:101], s[6:7], v[76:77]
	;; [unrolled: 1-line block ×7, first 2 shown]
	ds_write_b128 v106, v[40:43]
	ds_write_b128 v106, v[44:47] offset:800
	ds_write_b128 v106, v[52:55] offset:1600
	;; [unrolled: 1-line block ×9, first 2 shown]
	s_waitcnt lgkmcnt(0)
	s_barrier
	ds_read_b128 v[40:43], v106
	ds_read_b128 v[44:47], v106 offset:400
	v_mad_u64_u32 v[48:49], s[6:7], s2, v104, 0
	s_waitcnt lgkmcnt(1)
	v_mul_f64 v[50:51], v[38:39], v[42:43]
	v_mul_f64 v[38:39], v[38:39], v[40:41]
	v_mad_u64_u32 v[52:53], s[2:3], s3, v104, v[49:50]
	v_mad_u64_u32 v[53:54], s[2:3], s0, v105, 0
	v_fma_f64 v[40:41], v[36:37], v[40:41], v[50:51]
	v_fma_f64 v[38:39], v[36:37], v[42:43], -v[38:39]
	v_mov_b32_e32 v36, v54
	v_mad_u64_u32 v[42:43], s[2:3], s1, v105, v[36:37]
	s_mov_b32 s2, 0xd2f1a9fc
	s_mov_b32 s3, 0x3f70624d
	v_mov_b32_e32 v54, v42
	s_waitcnt lgkmcnt(0)
	v_mul_f64 v[42:43], v[22:23], v[46:47]
	v_mul_f64 v[22:23], v[22:23], v[44:45]
	v_mov_b32_e32 v49, v52
	v_mul_f64 v[36:37], v[40:41], s[2:3]
	v_mul_f64 v[38:39], v[38:39], s[2:3]
	v_lshlrev_b64 v[40:41], 4, v[48:49]
	v_mov_b32_e32 v48, s5
	v_add_co_u32_e32 v49, vcc, s4, v40
	v_fma_f64 v[42:43], v[20:21], v[44:45], v[42:43]
	v_fma_f64 v[44:45], v[20:21], v[46:47], -v[22:23]
	ds_read_b128 v[20:23], v106 offset:800
	v_addc_co_u32_e32 v48, vcc, v48, v41, vcc
	v_lshlrev_b64 v[40:41], 4, v[53:54]
	s_mulk_i32 s1, 0x190
	v_add_co_u32_e32 v46, vcc, v49, v40
	v_addc_co_u32_e32 v47, vcc, v48, v41, vcc
	global_store_dwordx4 v[46:47], v[36:39], off
	s_mul_hi_u32 s4, s0, 0x190
	v_mul_f64 v[36:37], v[42:43], s[2:3]
	ds_read_b128 v[40:43], v106 offset:1200
	s_waitcnt lgkmcnt(1)
	v_mul_f64 v[48:49], v[30:31], v[22:23]
	v_mul_f64 v[30:31], v[30:31], v[20:21]
	;; [unrolled: 1-line block ×3, first 2 shown]
	s_add_i32 s1, s4, s1
	s_waitcnt lgkmcnt(0)
	v_mul_f64 v[44:45], v[6:7], v[42:43]
	v_mul_f64 v[6:7], v[6:7], v[40:41]
	s_mulk_i32 s0, 0x190
	v_mov_b32_e32 v50, s1
	v_fma_f64 v[20:21], v[28:29], v[20:21], v[48:49]
	v_fma_f64 v[22:23], v[28:29], v[22:23], -v[30:31]
	ds_read_b128 v[28:31], v106 offset:1600
	v_add_co_u32_e32 v46, vcc, s0, v46
	v_addc_co_u32_e32 v47, vcc, v47, v50, vcc
	global_store_dwordx4 v[46:47], v[36:39], off
	v_mul_f64 v[20:21], v[20:21], s[2:3]
	v_mul_f64 v[22:23], v[22:23], s[2:3]
	v_fma_f64 v[36:37], v[4:5], v[40:41], v[44:45]
	v_fma_f64 v[38:39], v[4:5], v[42:43], -v[6:7]
	ds_read_b128 v[4:7], v106 offset:2000
	s_waitcnt lgkmcnt(1)
	v_mul_f64 v[40:41], v[34:35], v[30:31]
	v_mul_f64 v[34:35], v[34:35], v[28:29]
	v_mov_b32_e32 v48, s1
	v_add_co_u32_e32 v42, vcc, s0, v46
	v_addc_co_u32_e32 v43, vcc, v47, v48, vcc
	global_store_dwordx4 v[42:43], v[20:23], off
	v_fma_f64 v[28:29], v[32:33], v[28:29], v[40:41]
	v_mul_f64 v[20:21], v[36:37], s[2:3]
	v_mul_f64 v[22:23], v[38:39], s[2:3]
	v_fma_f64 v[30:31], v[32:33], v[30:31], -v[34:35]
	s_waitcnt lgkmcnt(0)
	v_mul_f64 v[32:33], v[2:3], v[6:7]
	v_mul_f64 v[2:3], v[2:3], v[4:5]
	v_mov_b32_e32 v36, s1
	v_add_co_u32_e32 v34, vcc, s0, v42
	v_addc_co_u32_e32 v35, vcc, v43, v36, vcc
	global_store_dwordx4 v[34:35], v[20:23], off
	v_fma_f64 v[4:5], v[0:1], v[4:5], v[32:33]
	v_mul_f64 v[20:21], v[28:29], s[2:3]
	v_mul_f64 v[22:23], v[30:31], s[2:3]
	ds_read_b128 v[28:31], v106 offset:2400
	v_fma_f64 v[6:7], v[0:1], v[6:7], -v[2:3]
	ds_read_b128 v[0:3], v106 offset:2800
	v_add_co_u32_e32 v34, vcc, s0, v34
	s_waitcnt lgkmcnt(1)
	v_mul_f64 v[32:33], v[26:27], v[30:31]
	v_mul_f64 v[26:27], v[26:27], v[28:29]
	v_addc_co_u32_e32 v35, vcc, v35, v36, vcc
	v_mul_f64 v[4:5], v[4:5], s[2:3]
	v_mul_f64 v[6:7], v[6:7], s[2:3]
	global_store_dwordx4 v[34:35], v[20:23], off
	s_nop 0
	v_fma_f64 v[20:21], v[24:25], v[28:29], v[32:33]
	v_fma_f64 v[22:23], v[24:25], v[30:31], -v[26:27]
	s_waitcnt lgkmcnt(0)
	v_mul_f64 v[24:25], v[10:11], v[2:3]
	v_mul_f64 v[10:11], v[10:11], v[0:1]
	v_add_co_u32_e32 v26, vcc, s0, v34
	v_addc_co_u32_e32 v27, vcc, v35, v36, vcc
	global_store_dwordx4 v[26:27], v[4:7], off
	v_mov_b32_e32 v28, s1
	v_mul_f64 v[4:5], v[20:21], s[2:3]
	v_mul_f64 v[6:7], v[22:23], s[2:3]
	v_fma_f64 v[20:21], v[8:9], v[0:1], v[24:25]
	v_fma_f64 v[22:23], v[8:9], v[2:3], -v[10:11]
	ds_read_b128 v[0:3], v106 offset:3200
	ds_read_b128 v[8:11], v106 offset:3600
	v_add_co_u32_e32 v24, vcc, s0, v26
	v_addc_co_u32_e32 v25, vcc, v27, v28, vcc
	s_waitcnt lgkmcnt(1)
	v_mul_f64 v[26:27], v[14:15], v[2:3]
	v_mul_f64 v[14:15], v[14:15], v[0:1]
	s_waitcnt lgkmcnt(0)
	v_mul_f64 v[28:29], v[18:19], v[10:11]
	v_mul_f64 v[18:19], v[18:19], v[8:9]
	global_store_dwordx4 v[24:25], v[4:7], off
	v_fma_f64 v[0:1], v[12:13], v[0:1], v[26:27]
	v_fma_f64 v[2:3], v[12:13], v[2:3], -v[14:15]
	v_mul_f64 v[4:5], v[20:21], s[2:3]
	v_mul_f64 v[6:7], v[22:23], s[2:3]
	v_fma_f64 v[8:9], v[16:17], v[8:9], v[28:29]
	v_fma_f64 v[10:11], v[16:17], v[10:11], -v[18:19]
	v_mov_b32_e32 v20, s1
	v_add_co_u32_e32 v12, vcc, s0, v24
	v_mul_f64 v[0:1], v[0:1], s[2:3]
	v_mul_f64 v[2:3], v[2:3], s[2:3]
	v_addc_co_u32_e32 v13, vcc, v25, v20, vcc
	global_store_dwordx4 v[12:13], v[4:7], off
	v_mov_b32_e32 v14, s1
	v_mul_f64 v[4:5], v[8:9], s[2:3]
	v_mul_f64 v[6:7], v[10:11], s[2:3]
	v_add_co_u32_e32 v8, vcc, s0, v12
	v_addc_co_u32_e32 v9, vcc, v13, v14, vcc
	global_store_dwordx4 v[8:9], v[0:3], off
	s_nop 0
	v_mov_b32_e32 v1, s1
	v_add_co_u32_e32 v0, vcc, s0, v8
	v_addc_co_u32_e32 v1, vcc, v9, v1, vcc
	global_store_dwordx4 v[0:1], v[4:7], off
.LBB0_2:
	s_endpgm
	.section	.rodata,"a",@progbits
	.p2align	6, 0x0
	.amdhsa_kernel bluestein_single_back_len250_dim1_dp_op_CI_CI
		.amdhsa_group_segment_fixed_size 20000
		.amdhsa_private_segment_fixed_size 0
		.amdhsa_kernarg_size 104
		.amdhsa_user_sgpr_count 6
		.amdhsa_user_sgpr_private_segment_buffer 1
		.amdhsa_user_sgpr_dispatch_ptr 0
		.amdhsa_user_sgpr_queue_ptr 0
		.amdhsa_user_sgpr_kernarg_segment_ptr 1
		.amdhsa_user_sgpr_dispatch_id 0
		.amdhsa_user_sgpr_flat_scratch_init 0
		.amdhsa_user_sgpr_private_segment_size 0
		.amdhsa_uses_dynamic_stack 0
		.amdhsa_system_sgpr_private_segment_wavefront_offset 0
		.amdhsa_system_sgpr_workgroup_id_x 1
		.amdhsa_system_sgpr_workgroup_id_y 0
		.amdhsa_system_sgpr_workgroup_id_z 0
		.amdhsa_system_sgpr_workgroup_info 0
		.amdhsa_system_vgpr_workitem_id 0
		.amdhsa_next_free_vgpr 197
		.amdhsa_next_free_sgpr 29
		.amdhsa_reserve_vcc 1
		.amdhsa_reserve_flat_scratch 0
		.amdhsa_float_round_mode_32 0
		.amdhsa_float_round_mode_16_64 0
		.amdhsa_float_denorm_mode_32 3
		.amdhsa_float_denorm_mode_16_64 3
		.amdhsa_dx10_clamp 1
		.amdhsa_ieee_mode 1
		.amdhsa_fp16_overflow 0
		.amdhsa_exception_fp_ieee_invalid_op 0
		.amdhsa_exception_fp_denorm_src 0
		.amdhsa_exception_fp_ieee_div_zero 0
		.amdhsa_exception_fp_ieee_overflow 0
		.amdhsa_exception_fp_ieee_underflow 0
		.amdhsa_exception_fp_ieee_inexact 0
		.amdhsa_exception_int_div_zero 0
	.end_amdhsa_kernel
	.text
.Lfunc_end0:
	.size	bluestein_single_back_len250_dim1_dp_op_CI_CI, .Lfunc_end0-bluestein_single_back_len250_dim1_dp_op_CI_CI
                                        ; -- End function
	.section	.AMDGPU.csdata,"",@progbits
; Kernel info:
; codeLenInByte = 11036
; NumSgprs: 33
; NumVgprs: 197
; ScratchSize: 0
; MemoryBound: 0
; FloatMode: 240
; IeeeMode: 1
; LDSByteSize: 20000 bytes/workgroup (compile time only)
; SGPRBlocks: 4
; VGPRBlocks: 49
; NumSGPRsForWavesPerEU: 33
; NumVGPRsForWavesPerEU: 197
; Occupancy: 1
; WaveLimiterHint : 1
; COMPUTE_PGM_RSRC2:SCRATCH_EN: 0
; COMPUTE_PGM_RSRC2:USER_SGPR: 6
; COMPUTE_PGM_RSRC2:TRAP_HANDLER: 0
; COMPUTE_PGM_RSRC2:TGID_X_EN: 1
; COMPUTE_PGM_RSRC2:TGID_Y_EN: 0
; COMPUTE_PGM_RSRC2:TGID_Z_EN: 0
; COMPUTE_PGM_RSRC2:TIDIG_COMP_CNT: 0
	.type	__hip_cuid_1ee2c21aca7b8877,@object ; @__hip_cuid_1ee2c21aca7b8877
	.section	.bss,"aw",@nobits
	.globl	__hip_cuid_1ee2c21aca7b8877
__hip_cuid_1ee2c21aca7b8877:
	.byte	0                               ; 0x0
	.size	__hip_cuid_1ee2c21aca7b8877, 1

	.ident	"AMD clang version 19.0.0git (https://github.com/RadeonOpenCompute/llvm-project roc-6.4.0 25133 c7fe45cf4b819c5991fe208aaa96edf142730f1d)"
	.section	".note.GNU-stack","",@progbits
	.addrsig
	.addrsig_sym __hip_cuid_1ee2c21aca7b8877
	.amdgpu_metadata
---
amdhsa.kernels:
  - .args:
      - .actual_access:  read_only
        .address_space:  global
        .offset:         0
        .size:           8
        .value_kind:     global_buffer
      - .actual_access:  read_only
        .address_space:  global
        .offset:         8
        .size:           8
        .value_kind:     global_buffer
      - .actual_access:  read_only
        .address_space:  global
        .offset:         16
        .size:           8
        .value_kind:     global_buffer
      - .actual_access:  read_only
        .address_space:  global
        .offset:         24
        .size:           8
        .value_kind:     global_buffer
      - .actual_access:  read_only
        .address_space:  global
        .offset:         32
        .size:           8
        .value_kind:     global_buffer
      - .offset:         40
        .size:           8
        .value_kind:     by_value
      - .address_space:  global
        .offset:         48
        .size:           8
        .value_kind:     global_buffer
      - .address_space:  global
        .offset:         56
        .size:           8
        .value_kind:     global_buffer
      - .address_space:  global
        .offset:         64
        .size:           8
        .value_kind:     global_buffer
      - .address_space:  global
        .offset:         72
        .size:           8
        .value_kind:     global_buffer
      - .offset:         80
        .size:           4
        .value_kind:     by_value
      - .address_space:  global
        .offset:         88
        .size:           8
        .value_kind:     global_buffer
      - .address_space:  global
        .offset:         96
        .size:           8
        .value_kind:     global_buffer
    .group_segment_fixed_size: 20000
    .kernarg_segment_align: 8
    .kernarg_segment_size: 104
    .language:       OpenCL C
    .language_version:
      - 2
      - 0
    .max_flat_workgroup_size: 125
    .name:           bluestein_single_back_len250_dim1_dp_op_CI_CI
    .private_segment_fixed_size: 0
    .sgpr_count:     33
    .sgpr_spill_count: 0
    .symbol:         bluestein_single_back_len250_dim1_dp_op_CI_CI.kd
    .uniform_work_group_size: 1
    .uses_dynamic_stack: false
    .vgpr_count:     197
    .vgpr_spill_count: 0
    .wavefront_size: 64
amdhsa.target:   amdgcn-amd-amdhsa--gfx906
amdhsa.version:
  - 1
  - 2
...

	.end_amdgpu_metadata
